;; amdgpu-corpus repo=ROCm/rocFFT kind=compiled arch=gfx950 opt=O3
	.text
	.amdgcn_target "amdgcn-amd-amdhsa--gfx950"
	.amdhsa_code_object_version 6
	.protected	fft_rtc_fwd_len385_factors_11_7_5_wgs_55_tpt_55_dp_op_CI_CI_unitstride_sbrr_dirReg ; -- Begin function fft_rtc_fwd_len385_factors_11_7_5_wgs_55_tpt_55_dp_op_CI_CI_unitstride_sbrr_dirReg
	.globl	fft_rtc_fwd_len385_factors_11_7_5_wgs_55_tpt_55_dp_op_CI_CI_unitstride_sbrr_dirReg
	.p2align	8
	.type	fft_rtc_fwd_len385_factors_11_7_5_wgs_55_tpt_55_dp_op_CI_CI_unitstride_sbrr_dirReg,@function
fft_rtc_fwd_len385_factors_11_7_5_wgs_55_tpt_55_dp_op_CI_CI_unitstride_sbrr_dirReg: ; @fft_rtc_fwd_len385_factors_11_7_5_wgs_55_tpt_55_dp_op_CI_CI_unitstride_sbrr_dirReg
; %bb.0:
	s_load_dwordx4 s[4:7], s[0:1], 0x58
	s_load_dwordx4 s[8:11], s[0:1], 0x0
	;; [unrolled: 1-line block ×3, first 2 shown]
	v_mul_u32_u24_e32 v1, 0x4a8, v0
	v_add_u32_sdwa v6, s2, v1 dst_sel:DWORD dst_unused:UNUSED_PAD src0_sel:DWORD src1_sel:WORD_1
	v_mov_b32_e32 v4, 0
	s_waitcnt lgkmcnt(0)
	v_cmp_lt_u64_e64 s[2:3], s[10:11], 2
	v_mov_b32_e32 v7, v4
	s_and_b64 vcc, exec, s[2:3]
	v_mov_b64_e32 v[2:3], 0
	s_cbranch_vccnz .LBB0_8
; %bb.1:
	s_load_dwordx2 s[2:3], s[0:1], 0x10
	s_add_u32 s16, s14, 8
	s_addc_u32 s17, s15, 0
	s_add_u32 s18, s12, 8
	s_addc_u32 s19, s13, 0
	s_waitcnt lgkmcnt(0)
	s_add_u32 s20, s2, 8
	v_mov_b64_e32 v[2:3], 0
	s_addc_u32 s21, s3, 0
	s_mov_b64 s[22:23], 1
	v_mov_b64_e32 v[60:61], v[2:3]
.LBB0_2:                                ; =>This Inner Loop Header: Depth=1
	s_load_dwordx2 s[24:25], s[20:21], 0x0
                                        ; implicit-def: $vgpr62_vgpr63
	s_waitcnt lgkmcnt(0)
	v_or_b32_e32 v5, s25, v7
	v_cmp_ne_u64_e32 vcc, 0, v[4:5]
	s_and_saveexec_b64 s[2:3], vcc
	s_xor_b64 s[26:27], exec, s[2:3]
	s_cbranch_execz .LBB0_4
; %bb.3:                                ;   in Loop: Header=BB0_2 Depth=1
	v_cvt_f32_u32_e32 v1, s24
	v_cvt_f32_u32_e32 v5, s25
	s_sub_u32 s2, 0, s24
	s_subb_u32 s3, 0, s25
	v_fmac_f32_e32 v1, 0x4f800000, v5
	v_rcp_f32_e32 v1, v1
	s_nop 0
	v_mul_f32_e32 v1, 0x5f7ffffc, v1
	v_mul_f32_e32 v5, 0x2f800000, v1
	v_trunc_f32_e32 v5, v5
	v_fmac_f32_e32 v1, 0xcf800000, v5
	v_cvt_u32_f32_e32 v5, v5
	v_cvt_u32_f32_e32 v1, v1
	v_mul_lo_u32 v8, s2, v5
	v_mul_hi_u32 v10, s2, v1
	v_mul_lo_u32 v9, s3, v1
	v_add_u32_e32 v10, v10, v8
	v_mul_lo_u32 v12, s2, v1
	v_add_u32_e32 v13, v10, v9
	v_mul_hi_u32 v8, v1, v12
	v_mul_hi_u32 v11, v1, v13
	v_mul_lo_u32 v10, v1, v13
	v_mov_b32_e32 v9, v4
	v_lshl_add_u64 v[8:9], v[8:9], 0, v[10:11]
	v_mul_hi_u32 v11, v5, v12
	v_mul_lo_u32 v12, v5, v12
	v_add_co_u32_e32 v8, vcc, v8, v12
	v_mul_hi_u32 v10, v5, v13
	s_nop 0
	v_addc_co_u32_e32 v8, vcc, v9, v11, vcc
	v_mov_b32_e32 v9, v4
	s_nop 0
	v_addc_co_u32_e32 v11, vcc, 0, v10, vcc
	v_mul_lo_u32 v10, v5, v13
	v_lshl_add_u64 v[8:9], v[8:9], 0, v[10:11]
	v_add_co_u32_e32 v1, vcc, v1, v8
	v_mul_lo_u32 v10, s2, v1
	s_nop 0
	v_addc_co_u32_e32 v5, vcc, v5, v9, vcc
	v_mul_lo_u32 v8, s2, v5
	v_mul_hi_u32 v9, s2, v1
	v_add_u32_e32 v8, v9, v8
	v_mul_lo_u32 v9, s3, v1
	v_add_u32_e32 v12, v8, v9
	v_mul_hi_u32 v14, v5, v10
	v_mul_lo_u32 v15, v5, v10
	v_mul_hi_u32 v9, v1, v12
	v_mul_lo_u32 v8, v1, v12
	v_mul_hi_u32 v10, v1, v10
	v_mov_b32_e32 v11, v4
	v_lshl_add_u64 v[8:9], v[10:11], 0, v[8:9]
	v_add_co_u32_e32 v8, vcc, v8, v15
	v_mul_hi_u32 v13, v5, v12
	s_nop 0
	v_addc_co_u32_e32 v8, vcc, v9, v14, vcc
	v_mul_lo_u32 v10, v5, v12
	s_nop 0
	v_addc_co_u32_e32 v11, vcc, 0, v13, vcc
	v_mov_b32_e32 v9, v4
	v_lshl_add_u64 v[8:9], v[8:9], 0, v[10:11]
	v_add_co_u32_e32 v1, vcc, v1, v8
	v_mul_hi_u32 v10, v6, v1
	s_nop 0
	v_addc_co_u32_e32 v5, vcc, v5, v9, vcc
	v_mad_u64_u32 v[8:9], s[2:3], v6, v5, 0
	v_mov_b32_e32 v11, v4
	v_lshl_add_u64 v[8:9], v[10:11], 0, v[8:9]
	v_mad_u64_u32 v[12:13], s[2:3], v7, v1, 0
	v_add_co_u32_e32 v1, vcc, v8, v12
	v_mad_u64_u32 v[10:11], s[2:3], v7, v5, 0
	s_nop 0
	v_addc_co_u32_e32 v8, vcc, v9, v13, vcc
	v_mov_b32_e32 v9, v4
	s_nop 0
	v_addc_co_u32_e32 v11, vcc, 0, v11, vcc
	v_lshl_add_u64 v[8:9], v[8:9], 0, v[10:11]
	v_mul_lo_u32 v1, s25, v8
	v_mul_lo_u32 v5, s24, v9
	v_mad_u64_u32 v[10:11], s[2:3], s24, v8, 0
	v_add3_u32 v1, v11, v5, v1
	v_sub_u32_e32 v5, v7, v1
	v_mov_b32_e32 v11, s25
	v_sub_co_u32_e32 v14, vcc, v6, v10
	v_lshl_add_u64 v[12:13], v[8:9], 0, 1
	s_nop 0
	v_subb_co_u32_e64 v5, s[2:3], v5, v11, vcc
	v_subrev_co_u32_e64 v10, s[2:3], s24, v14
	v_subb_co_u32_e32 v1, vcc, v7, v1, vcc
	s_nop 0
	v_subbrev_co_u32_e64 v5, s[2:3], 0, v5, s[2:3]
	v_cmp_le_u32_e64 s[2:3], s25, v5
	v_cmp_le_u32_e32 vcc, s25, v1
	s_nop 0
	v_cndmask_b32_e64 v11, 0, -1, s[2:3]
	v_cmp_le_u32_e64 s[2:3], s24, v10
	s_nop 1
	v_cndmask_b32_e64 v10, 0, -1, s[2:3]
	v_cmp_eq_u32_e64 s[2:3], s25, v5
	s_nop 1
	v_cndmask_b32_e64 v5, v11, v10, s[2:3]
	v_lshl_add_u64 v[10:11], v[8:9], 0, 2
	v_cmp_ne_u32_e64 s[2:3], 0, v5
	s_nop 1
	v_cndmask_b32_e64 v5, v13, v11, s[2:3]
	v_cndmask_b32_e64 v11, 0, -1, vcc
	v_cmp_le_u32_e32 vcc, s24, v14
	s_nop 1
	v_cndmask_b32_e64 v13, 0, -1, vcc
	v_cmp_eq_u32_e32 vcc, s25, v1
	s_nop 1
	v_cndmask_b32_e32 v1, v11, v13, vcc
	v_cmp_ne_u32_e32 vcc, 0, v1
	v_cndmask_b32_e64 v1, v12, v10, s[2:3]
	s_nop 0
	v_cndmask_b32_e32 v63, v9, v5, vcc
	v_cndmask_b32_e32 v62, v8, v1, vcc
.LBB0_4:                                ;   in Loop: Header=BB0_2 Depth=1
	s_andn2_saveexec_b64 s[2:3], s[26:27]
	s_cbranch_execz .LBB0_6
; %bb.5:                                ;   in Loop: Header=BB0_2 Depth=1
	v_cvt_f32_u32_e32 v1, s24
	s_sub_i32 s26, 0, s24
	v_mov_b32_e32 v63, v4
	v_rcp_iflag_f32_e32 v1, v1
	s_nop 0
	v_mul_f32_e32 v1, 0x4f7ffffe, v1
	v_cvt_u32_f32_e32 v1, v1
	v_mul_lo_u32 v5, s26, v1
	v_mul_hi_u32 v5, v1, v5
	v_add_u32_e32 v1, v1, v5
	v_mul_hi_u32 v1, v6, v1
	v_mul_lo_u32 v5, v1, s24
	v_sub_u32_e32 v5, v6, v5
	v_add_u32_e32 v8, 1, v1
	v_subrev_u32_e32 v9, s24, v5
	v_cmp_le_u32_e32 vcc, s24, v5
	s_nop 1
	v_cndmask_b32_e32 v5, v5, v9, vcc
	v_cndmask_b32_e32 v1, v1, v8, vcc
	v_add_u32_e32 v8, 1, v1
	v_cmp_le_u32_e32 vcc, s24, v5
	s_nop 1
	v_cndmask_b32_e32 v62, v1, v8, vcc
.LBB0_6:                                ;   in Loop: Header=BB0_2 Depth=1
	s_or_b64 exec, exec, s[2:3]
	v_mad_u64_u32 v[8:9], s[2:3], v62, s24, 0
	s_load_dwordx2 s[2:3], s[18:19], 0x0
	v_mul_lo_u32 v1, v63, s24
	v_mul_lo_u32 v5, v62, s25
	s_load_dwordx2 s[24:25], s[16:17], 0x0
	s_add_u32 s22, s22, 1
	v_add3_u32 v1, v9, v5, v1
	v_sub_co_u32_e32 v5, vcc, v6, v8
	s_addc_u32 s23, s23, 0
	s_nop 0
	v_subb_co_u32_e32 v1, vcc, v7, v1, vcc
	s_add_u32 s16, s16, 8
	s_waitcnt lgkmcnt(0)
	v_mul_lo_u32 v6, s2, v1
	v_mul_lo_u32 v7, s3, v5
	v_mad_u64_u32 v[2:3], s[2:3], s2, v5, v[2:3]
	s_addc_u32 s17, s17, 0
	v_add3_u32 v3, v7, v3, v6
	v_mul_lo_u32 v1, s24, v1
	v_mul_lo_u32 v6, s25, v5
	v_mad_u64_u32 v[60:61], s[2:3], s24, v5, v[60:61]
	s_add_u32 s18, s18, 8
	v_add3_u32 v61, v6, v61, v1
	s_addc_u32 s19, s19, 0
	v_mov_b64_e32 v[6:7], s[10:11]
	s_add_u32 s20, s20, 8
	v_cmp_ge_u64_e32 vcc, s[22:23], v[6:7]
	s_addc_u32 s21, s21, 0
	s_cbranch_vccnz .LBB0_9
; %bb.7:                                ;   in Loop: Header=BB0_2 Depth=1
	v_mov_b64_e32 v[6:7], v[62:63]
	s_branch .LBB0_2
.LBB0_8:
	v_mov_b64_e32 v[60:61], v[2:3]
	v_mov_b64_e32 v[62:63], v[6:7]
.LBB0_9:
	s_load_dwordx2 s[18:19], s[0:1], 0x28
	s_lshl_b64 s[16:17], s[10:11], 3
	s_add_u32 s2, s14, s16
	s_addc_u32 s3, s15, s17
                                        ; implicit-def: $vgpr64
	s_waitcnt lgkmcnt(0)
	v_cmp_gt_u64_e64 s[0:1], s[18:19], v[62:63]
	v_cmp_le_u64_e32 vcc, s[18:19], v[62:63]
	s_and_saveexec_b64 s[10:11], vcc
	s_xor_b64 s[10:11], exec, s[10:11]
; %bb.10:
	s_mov_b32 s14, 0x4a7904b
	v_mul_hi_u32 v1, v0, s14
	v_mul_u32_u24_e32 v1, 55, v1
	v_sub_u32_e32 v64, v0, v1
                                        ; implicit-def: $vgpr0
                                        ; implicit-def: $vgpr2_vgpr3
; %bb.11:
	s_andn2_saveexec_b64 s[10:11], s[10:11]
	s_cbranch_execz .LBB0_13
; %bb.12:
	s_add_u32 s12, s12, s16
	s_addc_u32 s13, s13, s17
	s_load_dwordx2 s[12:13], s[12:13], 0x0
	s_mov_b32 s14, 0x4a7904b
	v_mov_b32_e32 v29, 0
	s_waitcnt lgkmcnt(0)
	v_mul_lo_u32 v1, s13, v62
	v_mul_lo_u32 v6, s12, v63
	v_mad_u64_u32 v[4:5], s[12:13], s12, v62, 0
	v_add3_u32 v5, v5, v6, v1
	v_mul_hi_u32 v1, v0, s14
	v_mul_u32_u24_e32 v1, 55, v1
	v_sub_u32_e32 v64, v0, v1
	v_lshl_add_u64 v[0:1], v[4:5], 4, s[4:5]
	v_lshl_add_u64 v[0:1], v[2:3], 4, v[0:1]
	v_lshlrev_b32_e32 v28, 4, v64
	v_lshl_add_u64 v[30:31], v[0:1], 0, v[28:29]
	v_add_co_u32_e32 v32, vcc, 0x1000, v30
	global_load_dwordx4 v[0:3], v[30:31], off
	global_load_dwordx4 v[4:7], v[30:31], off offset:880
	global_load_dwordx4 v[8:11], v[30:31], off offset:1760
	;; [unrolled: 1-line block ×3, first 2 shown]
	v_addc_co_u32_e32 v33, vcc, 0, v31, vcc
	global_load_dwordx4 v[16:19], v[30:31], off offset:3520
	global_load_dwordx4 v[20:23], v[32:33], off offset:304
	;; [unrolled: 1-line block ×3, first 2 shown]
	v_add_u32_e32 v28, 0, v28
	s_waitcnt vmcnt(6)
	ds_write_b128 v28, v[0:3]
	s_waitcnt vmcnt(5)
	ds_write_b128 v28, v[4:7] offset:880
	s_waitcnt vmcnt(4)
	ds_write_b128 v28, v[8:11] offset:1760
	;; [unrolled: 2-line block ×6, first 2 shown]
.LBB0_13:
	s_or_b64 exec, exec, s[10:11]
	v_lshl_add_u32 v65, v64, 4, 0
	s_waitcnt lgkmcnt(0)
	; wave barrier
	s_waitcnt lgkmcnt(0)
	ds_read_b128 v[12:15], v65 offset:5600
	ds_read_b128 v[16:19], v65 offset:560
	ds_read_b128 v[20:23], v65
	ds_read_b128 v[24:27], v65 offset:1120
	ds_read_b128 v[28:31], v65 offset:1680
	ds_read_b128 v[32:35], v65 offset:5040
	ds_read_b128 v[36:39], v65 offset:4480
	s_mov_b32 s10, 0x8eee2c13
	s_waitcnt lgkmcnt(5)
	v_add_f64 v[70:71], v[18:19], -v[14:15]
	s_mov_b32 s4, 0xd9c712b6
	s_mov_b32 s11, 0xbfed1bb4
	;; [unrolled: 1-line block ×3, first 2 shown]
	ds_read_b128 v[40:43], v65 offset:3920
	ds_read_b128 v[44:47], v65 offset:2240
	v_add_f64 v[66:67], v[16:17], v[12:13]
	v_add_f64 v[68:69], v[16:17], -v[12:13]
	s_mov_b32 s5, 0x3fda9628
	v_mul_f64 v[76:77], v[70:71], s[10:11]
	s_mov_b32 s12, 0x7f775887
	s_mov_b32 s15, 0xbfe82f19
	s_waitcnt lgkmcnt(3)
	v_add_f64 v[82:83], v[26:27], -v[34:35]
	v_add_f64 v[72:73], v[18:19], v[14:15]
	v_mul_f64 v[80:81], v[68:69], s[10:11]
	v_fma_f64 v[0:1], s[4:5], v[66:67], v[76:77]
	s_mov_b32 s13, 0xbfe4f49e
	v_add_f64 v[74:75], v[24:25], v[32:33]
	v_add_f64 v[78:79], v[24:25], -v[32:33]
	v_mul_f64 v[90:91], v[82:83], s[14:15]
	s_mov_b32 s22, 0xfd768dbf
	ds_read_b128 v[48:51], v65 offset:2800
	ds_read_b128 v[52:55], v65 offset:3360
	v_add_f64 v[0:1], v[20:21], v[0:1]
	v_fma_f64 v[2:3], v[72:73], s[4:5], -v[80:81]
	v_add_f64 v[86:87], v[26:27], v[34:35]
	v_mul_f64 v[94:95], v[78:79], s[14:15]
	v_fma_f64 v[4:5], s[12:13], v[74:75], v[90:91]
	s_mov_b32 s16, 0x9bcd5057
	s_mov_b32 s23, 0x3fd207e7
	s_waitcnt lgkmcnt(4)
	v_add_f64 v[92:93], v[30:31], -v[38:39]
	v_add_f64 v[2:3], v[22:23], v[2:3]
	v_add_f64 v[0:1], v[4:5], v[0:1]
	v_fma_f64 v[4:5], v[86:87], s[12:13], -v[94:95]
	s_mov_b32 s17, 0xbfeeb42a
	v_add_f64 v[84:85], v[28:29], v[36:37]
	v_mul_f64 v[98:99], v[92:93], s[22:23]
	v_add_f64 v[88:89], v[28:29], -v[36:37]
	s_mov_b32 s20, 0x43842ef
	v_add_f64 v[2:3], v[4:5], v[2:3]
	v_fma_f64 v[4:5], s[16:17], v[84:85], v[98:99]
	v_add_f64 v[96:97], v[30:31], v[38:39]
	v_mul_f64 v[100:101], v[88:89], s[22:23]
	s_mov_b32 s18, 0x640f44db
	s_mov_b32 s21, 0xbfefac9e
	;; [unrolled: 1-line block ×4, first 2 shown]
	s_waitcnt lgkmcnt(2)
	v_add_f64 v[108:109], v[46:47], -v[42:43]
	v_add_f64 v[0:1], v[4:5], v[0:1]
	v_fma_f64 v[4:5], v[96:97], s[16:17], -v[100:101]
	s_mov_b32 s19, 0xbfc2375f
	v_add_f64 v[102:103], v[44:45], v[40:41]
	v_mul_f64 v[116:117], v[108:109], s[24:25]
	v_add_f64 v[106:107], v[44:45], -v[40:41]
	s_mov_b32 s30, 0xf8bb580b
	v_add_f64 v[2:3], v[4:5], v[2:3]
	v_fma_f64 v[4:5], s[18:19], v[102:103], v[116:117]
	v_add_f64 v[114:115], v[46:47], v[42:43]
	v_mul_f64 v[122:123], v[106:107], s[24:25]
	s_mov_b32 s28, 0x8764f0ba
	s_mov_b32 s31, 0xbfe14ced
	;; [unrolled: 1-line block ×4, first 2 shown]
	s_waitcnt lgkmcnt(0)
	v_add_f64 v[112:113], v[50:51], -v[54:55]
	v_add_f64 v[0:1], v[4:5], v[0:1]
	v_fma_f64 v[4:5], v[114:115], s[18:19], -v[122:123]
	s_mov_b32 s29, 0x3feaeb8c
	v_add_f64 v[104:105], v[48:49], v[52:53]
	v_mul_f64 v[120:121], v[112:113], s[34:35]
	v_add_f64 v[110:111], v[48:49], -v[52:53]
	v_add_f64 v[2:3], v[4:5], v[2:3]
	v_fma_f64 v[4:5], s[28:29], v[104:105], v[120:121]
	v_add_f64 v[118:119], v[50:51], v[54:55]
	v_mul_f64 v[124:125], v[110:111], s[34:35]
	v_add_f64 v[0:1], v[4:5], v[0:1]
	v_fma_f64 v[4:5], v[118:119], s[28:29], -v[124:125]
	v_mul_f64 v[126:127], v[70:71], s[20:21]
	v_add_f64 v[2:3], v[4:5], v[2:3]
	v_fma_f64 v[4:5], s[18:19], v[66:67], v[126:127]
	v_mul_f64 v[128:129], v[82:83], s[22:23]
	v_add_f64 v[4:5], v[20:21], v[4:5]
	v_fma_f64 v[6:7], s[16:17], v[74:75], v[128:129]
	v_mul_f64 v[134:135], v[68:69], s[20:21]
	v_add_f64 v[4:5], v[6:7], v[4:5]
	v_fma_f64 v[6:7], v[72:73], s[18:19], -v[134:135]
	v_mul_f64 v[138:139], v[78:79], s[22:23]
	s_mov_b32 s37, 0x3fed1bb4
	s_mov_b32 s36, s10
	v_add_f64 v[6:7], v[22:23], v[6:7]
	v_fma_f64 v[8:9], v[86:87], s[16:17], -v[138:139]
	v_mul_f64 v[130:131], v[92:93], s[36:37]
	v_add_f64 v[6:7], v[8:9], v[6:7]
	v_fma_f64 v[8:9], s[4:5], v[84:85], v[130:131]
	v_mul_f64 v[140:141], v[88:89], s[36:37]
	v_add_f64 v[4:5], v[8:9], v[4:5]
	v_fma_f64 v[8:9], v[96:97], s[4:5], -v[140:141]
	v_mul_f64 v[132:133], v[108:109], s[30:31]
	v_add_f64 v[6:7], v[8:9], v[6:7]
	v_fma_f64 v[8:9], s[28:29], v[102:103], v[132:133]
	v_mul_f64 v[142:143], v[106:107], s[30:31]
	;; [unrolled: 6-line block ×4, first 2 shown]
	v_add_f64 v[8:9], v[20:21], v[8:9]
	v_fma_f64 v[10:11], s[18:19], v[74:75], v[148:149]
	v_mul_f64 v[152:153], v[68:69], s[14:15]
	v_add_f64 v[8:9], v[10:11], v[8:9]
	v_fma_f64 v[10:11], v[72:73], s[12:13], -v[152:153]
	v_mul_f64 v[156:157], v[78:79], s[24:25]
	v_add_f64 v[10:11], v[22:23], v[10:11]
	v_fma_f64 v[56:57], v[86:87], s[18:19], -v[156:157]
	v_mul_f64 v[150:151], v[92:93], s[30:31]
	v_add_f64 v[10:11], v[56:57], v[10:11]
	v_fma_f64 v[56:57], s[28:29], v[84:85], v[150:151]
	v_mul_f64 v[160:161], v[88:89], s[30:31]
	s_mov_b32 s39, 0xbfd207e7
	s_mov_b32 s38, s22
	v_add_f64 v[8:9], v[56:57], v[8:9]
	v_fma_f64 v[56:57], v[96:97], s[28:29], -v[160:161]
	v_mul_f64 v[154:155], v[108:109], s[38:39]
	v_add_f64 v[10:11], v[56:57], v[10:11]
	v_fma_f64 v[56:57], s[16:17], v[102:103], v[154:155]
	v_mul_f64 v[162:163], v[106:107], s[38:39]
	v_add_f64 v[8:9], v[56:57], v[8:9]
	v_fma_f64 v[56:57], v[114:115], s[16:17], -v[162:163]
	v_mul_f64 v[158:159], v[112:113], s[36:37]
	v_add_f64 v[10:11], v[56:57], v[10:11]
	v_fma_f64 v[56:57], s[4:5], v[104:105], v[158:159]
	v_mul_f64 v[164:165], v[110:111], s[36:37]
	v_add_f64 v[8:9], v[56:57], v[8:9]
	v_fma_f64 v[56:57], v[118:119], s[4:5], -v[164:165]
	v_add_f64 v[10:11], v[56:57], v[10:11]
	v_cmp_gt_u32_e32 vcc, 35, v64
	s_waitcnt lgkmcnt(0)
	; wave barrier
	s_and_saveexec_b64 s[26:27], vcc
	s_cbranch_execz .LBB0_15
; %bb.14:
	v_mul_f64 v[166:167], v[72:73], s[16:17]
	v_fma_f64 v[56:57], s[22:23], v[68:69], v[166:167]
	v_mul_f64 v[168:169], v[86:87], s[28:29]
	v_add_f64 v[56:57], v[22:23], v[56:57]
	v_fma_f64 v[58:59], s[30:31], v[78:79], v[168:169]
	s_mov_b32 s41, 0x3fe82f19
	s_mov_b32 s40, s14
	v_mul_f64 v[170:171], v[96:97], s[12:13]
	v_add_f64 v[56:57], v[58:59], v[56:57]
	v_fma_f64 v[58:59], s[40:41], v[88:89], v[170:171]
	v_mul_f64 v[172:173], v[114:115], s[4:5]
	v_add_f64 v[56:57], v[58:59], v[56:57]
	v_fma_f64 v[58:59], s[10:11], v[106:107], v[172:173]
	;; [unrolled: 3-line block ×3, first 2 shown]
	v_mul_f64 v[176:177], v[82:83], s[34:35]
	v_fmac_f64_e32 v[166:167], s[38:39], v[68:69]
	v_add_f64 v[58:59], v[20:21], v[58:59]
	v_fma_f64 v[178:179], s[28:29], v[74:75], v[176:177]
	v_fmac_f64_e32 v[168:169], s[34:35], v[78:79]
	v_add_f64 v[166:167], v[22:23], v[166:167]
	v_add_f64 v[58:59], v[178:179], v[58:59]
	v_mul_f64 v[178:179], v[92:93], s[14:15]
	v_add_f64 v[166:167], v[168:169], v[166:167]
	v_fmac_f64_e32 v[170:171], s[14:15], v[88:89]
	v_fma_f64 v[180:181], s[12:13], v[84:85], v[178:179]
	v_add_f64 v[166:167], v[170:171], v[166:167]
	v_fma_f64 v[170:171], v[66:67], s[16:17], -v[174:175]
	v_add_f64 v[58:59], v[180:181], v[58:59]
	v_mul_f64 v[180:181], v[108:109], s[36:37]
	v_fma_f64 v[168:169], v[74:75], s[28:29], -v[176:177]
	v_add_f64 v[170:171], v[20:21], v[170:171]
	v_fma_f64 v[182:183], s[4:5], v[102:103], v[180:181]
	v_mul_f64 v[184:185], v[118:119], s[18:19]
	v_fmac_f64_e32 v[172:173], s[36:37], v[106:107]
	v_add_f64 v[168:169], v[168:169], v[170:171]
	v_fma_f64 v[170:171], v[84:85], s[12:13], -v[178:179]
	v_add_f64 v[182:183], v[182:183], v[58:59]
	v_fma_f64 v[58:59], s[24:25], v[110:111], v[184:185]
	v_mul_f64 v[186:187], v[112:113], s[20:21]
	v_add_f64 v[166:167], v[172:173], v[166:167]
	v_add_f64 v[168:169], v[170:171], v[168:169]
	v_fma_f64 v[170:171], v[102:103], s[4:5], -v[180:181]
	v_fmac_f64_e32 v[184:185], s[20:21], v[110:111]
	v_add_f64 v[170:171], v[170:171], v[168:169]
	v_add_f64 v[168:169], v[184:185], v[166:167]
	v_fma_f64 v[166:167], v[104:105], s[18:19], -v[186:187]
	v_add_f64 v[166:167], v[166:167], v[170:171]
	v_mul_f64 v[170:171], v[118:119], s[4:5]
	v_add_f64 v[164:165], v[164:165], v[170:171]
	v_mul_f64 v[170:171], v[114:115], s[16:17]
	;; [unrolled: 2-line block ×5, first 2 shown]
	v_add_f64 v[152:153], v[152:153], v[170:171]
	v_add_f64 v[152:153], v[22:23], v[152:153]
	;; [unrolled: 1-line block ×3, first 2 shown]
	v_mul_f64 v[156:157], v[104:105], s[4:5]
	v_add_f64 v[156:157], v[156:157], -v[158:159]
	v_mul_f64 v[158:159], v[102:103], s[16:17]
	v_add_f64 v[154:155], v[158:159], -v[154:155]
	;; [unrolled: 2-line block ×5, first 2 shown]
	v_add_f64 v[146:147], v[20:21], v[146:147]
	v_add_f64 v[146:147], v[148:149], v[146:147]
	;; [unrolled: 1-line block ×4, first 2 shown]
	v_mul_f64 v[154:155], v[118:119], s[12:13]
	v_add_f64 v[144:145], v[144:145], v[154:155]
	v_mul_f64 v[154:155], v[114:115], s[28:29]
	v_add_f64 v[142:143], v[142:143], v[154:155]
	;; [unrolled: 2-line block ×5, first 2 shown]
	v_add_f64 v[134:135], v[22:23], v[134:135]
	v_add_f64 v[134:135], v[138:139], v[134:135]
	;; [unrolled: 1-line block ×4, first 2 shown]
	v_mul_f64 v[142:143], v[104:105], s[12:13]
	v_add_f64 v[152:153], v[160:161], v[152:153]
	v_add_f64 v[136:137], v[142:143], -v[136:137]
	v_mul_f64 v[142:143], v[102:103], s[28:29]
	v_add_f64 v[152:153], v[162:163], v[152:153]
	v_mul_f64 v[154:155], v[66:67], s[18:19]
	v_add_f64 v[132:133], v[142:143], -v[132:133]
	v_mul_f64 v[142:143], v[84:85], s[4:5]
	v_add_f64 v[148:149], v[164:165], v[152:153]
	v_mul_f64 v[152:153], v[72:73], s[4:5]
	v_add_f64 v[130:131], v[142:143], -v[130:131]
	v_mul_f64 v[142:143], v[74:75], s[16:17]
	v_add_f64 v[126:127], v[154:155], -v[126:127]
	v_mul_f64 v[150:151], v[66:67], s[4:5]
	v_mul_f64 v[140:141], v[86:87], s[12:13]
	v_add_f64 v[128:129], v[142:143], -v[128:129]
	v_add_f64 v[126:127], v[20:21], v[126:127]
	v_add_f64 v[80:81], v[80:81], v[152:153]
	v_mul_f64 v[138:139], v[74:75], s[12:13]
	v_mul_f64 v[154:155], v[96:97], s[16:17]
	v_add_f64 v[126:127], v[128:129], v[126:127]
	v_add_f64 v[94:95], v[94:95], v[140:141]
	;; [unrolled: 1-line block ×3, first 2 shown]
	v_add_f64 v[76:77], v[150:151], -v[76:77]
	v_mul_f64 v[142:143], v[84:85], s[16:17]
	v_add_f64 v[126:127], v[130:131], v[126:127]
	v_mul_f64 v[130:131], v[114:115], s[18:19]
	v_add_f64 v[100:101], v[100:101], v[154:155]
	v_add_f64 v[80:81], v[94:95], v[80:81]
	v_add_f64 v[90:91], v[138:139], -v[90:91]
	v_add_f64 v[76:77], v[20:21], v[76:77]
	v_add_f64 v[146:147], v[156:157], v[146:147]
	v_mul_f64 v[156:157], v[102:103], s[18:19]
	v_add_f64 v[128:129], v[144:145], v[134:135]
	v_mul_f64 v[134:135], v[118:119], s[28:29]
	v_add_f64 v[122:123], v[122:123], v[130:131]
	v_add_f64 v[80:81], v[100:101], v[80:81]
	v_add_f64 v[98:99], v[142:143], -v[98:99]
	v_add_f64 v[76:77], v[90:91], v[76:77]
	v_add_f64 v[126:127], v[132:133], v[126:127]
	v_mul_f64 v[132:133], v[104:105], s[28:29]
	v_add_f64 v[124:125], v[124:125], v[134:135]
	v_add_f64 v[80:81], v[122:123], v[80:81]
	v_add_f64 v[94:95], v[156:157], -v[116:117]
	v_add_f64 v[76:77], v[98:99], v[76:77]
	v_add_f64 v[100:101], v[124:125], v[80:81]
	v_add_f64 v[80:81], v[132:133], -v[120:121]
	v_add_f64 v[76:77], v[94:95], v[76:77]
	v_add_f64 v[98:99], v[80:81], v[76:77]
	v_mul_f64 v[76:77], v[118:119], s[16:17]
	v_mul_f64 v[118:119], v[72:73], s[28:29]
	v_add_f64 v[18:19], v[22:23], v[18:19]
	v_add_f64 v[16:17], v[20:21], v[16:17]
	v_mul_f64 v[86:87], v[86:87], s[4:5]
	v_fma_f64 v[72:73], s[34:35], v[68:69], v[118:119]
	v_add_f64 v[18:19], v[18:19], v[26:27]
	v_add_f64 v[16:17], v[16:17], v[24:25]
	v_mul_f64 v[96:97], v[96:97], s[18:19]
	v_fma_f64 v[116:117], s[36:37], v[78:79], v[86:87]
	v_add_f64 v[72:73], v[22:23], v[72:73]
	v_fmac_f64_e32 v[118:119], s[30:31], v[68:69]
	v_add_f64 v[18:19], v[18:19], v[30:31]
	v_add_f64 v[16:17], v[16:17], v[28:29]
	v_mul_f64 v[90:91], v[114:115], s[12:13]
	v_fma_f64 v[114:115], s[24:25], v[88:89], v[96:97]
	v_add_f64 v[72:73], v[116:117], v[72:73]
	v_fmac_f64_e32 v[86:87], s[10:11], v[78:79]
	v_add_f64 v[68:69], v[22:23], v[118:119]
	v_add_f64 v[18:19], v[18:19], v[46:47]
	;; [unrolled: 1-line block ×3, first 2 shown]
	v_fma_f64 v[94:95], s[40:41], v[106:107], v[90:91]
	v_add_f64 v[72:73], v[114:115], v[72:73]
	v_mul_f64 v[120:121], v[70:71], s[30:31]
	v_fmac_f64_e32 v[96:97], s[20:21], v[88:89]
	v_add_f64 v[68:69], v[86:87], v[68:69]
	v_add_f64 v[18:19], v[18:19], v[50:51]
	;; [unrolled: 1-line block ×3, first 2 shown]
	v_fma_f64 v[80:81], s[22:23], v[110:111], v[76:77]
	v_add_f64 v[72:73], v[94:95], v[72:73]
	v_mul_f64 v[82:83], v[82:83], s[10:11]
	v_fma_f64 v[70:71], s[28:29], v[66:67], v[120:121]
	v_fmac_f64_e32 v[90:91], s[14:15], v[106:107]
	v_add_f64 v[68:69], v[96:97], v[68:69]
	v_fma_f64 v[66:67], v[66:67], s[28:29], -v[120:121]
	v_add_f64 v[18:19], v[18:19], v[54:55]
	v_add_f64 v[16:17], v[16:17], v[52:53]
	;; [unrolled: 1-line block ×3, first 2 shown]
	v_mul_f64 v[80:81], v[112:113], s[38:39]
	v_mul_f64 v[92:93], v[92:93], s[20:21]
	v_fma_f64 v[116:117], s[4:5], v[74:75], v[82:83]
	v_add_f64 v[70:71], v[20:21], v[70:71]
	v_fmac_f64_e32 v[76:77], s[38:39], v[110:111]
	v_add_f64 v[68:69], v[90:91], v[68:69]
	v_fma_f64 v[74:75], v[74:75], s[4:5], -v[82:83]
	v_add_f64 v[66:67], v[20:21], v[66:67]
	v_add_f64 v[18:19], v[18:19], v[42:43]
	;; [unrolled: 1-line block ×3, first 2 shown]
	v_fma_f64 v[94:95], s[16:17], v[104:105], v[80:81]
	v_mul_f64 v[108:109], v[108:109], s[14:15]
	v_fma_f64 v[114:115], s[18:19], v[84:85], v[92:93]
	v_add_f64 v[70:71], v[116:117], v[70:71]
	v_add_f64 v[68:69], v[76:77], v[68:69]
	v_fma_f64 v[76:77], v[104:105], s[16:17], -v[80:81]
	v_fma_f64 v[80:81], v[84:85], s[18:19], -v[92:93]
	v_add_f64 v[66:67], v[74:75], v[66:67]
	v_add_f64 v[18:19], v[18:19], v[38:39]
	;; [unrolled: 1-line block ×3, first 2 shown]
	v_fma_f64 v[112:113], s[12:13], v[102:103], v[108:109]
	v_add_f64 v[70:71], v[114:115], v[70:71]
	v_fma_f64 v[78:79], v[102:103], s[12:13], -v[108:109]
	v_add_f64 v[66:67], v[80:81], v[66:67]
	v_add_f64 v[18:19], v[18:19], v[34:35]
	;; [unrolled: 1-line block ×3, first 2 shown]
	s_movk_i32 s4, 0xa0
	v_add_f64 v[58:59], v[58:59], v[56:57]
	v_fma_f64 v[56:57], s[18:19], v[104:105], v[186:187]
	v_add_f64 v[70:71], v[112:113], v[70:71]
	v_add_f64 v[66:67], v[78:79], v[66:67]
	;; [unrolled: 1-line block ×4, first 2 shown]
	v_mad_u32_u24 v16, v64, s4, v65
	v_add_f64 v[56:57], v[56:57], v[182:183]
	v_add_f64 v[126:127], v[136:137], v[126:127]
	;; [unrolled: 1-line block ×4, first 2 shown]
	ds_write_b128 v16, v[12:15]
	ds_write_b128 v16, v[66:69] offset:16
	ds_write_b128 v16, v[98:101] offset:32
	ds_write_b128 v16, v[126:129] offset:48
	ds_write_b128 v16, v[146:149] offset:64
	ds_write_b128 v16, v[166:169] offset:80
	ds_write_b128 v16, v[56:59] offset:96
	ds_write_b128 v16, v[8:11] offset:112
	ds_write_b128 v16, v[4:7] offset:128
	ds_write_b128 v16, v[0:3] offset:144
	ds_write_b128 v16, v[70:73] offset:160
.LBB0_15:
	s_or_b64 exec, exec, s[26:27]
	s_movk_i32 s4, 0x75
	v_mul_lo_u16_sdwa v12, v64, s4 dst_sel:DWORD dst_unused:UNUSED_PAD src0_sel:BYTE_0 src1_sel:DWORD
	v_sub_u16_sdwa v13, v64, v12 dst_sel:DWORD dst_unused:UNUSED_PAD src0_sel:DWORD src1_sel:BYTE_1
	v_lshrrev_b16_e32 v13, 1, v13
	v_and_b32_e32 v13, 0x7f, v13
	v_add_u16_sdwa v12, v13, v12 dst_sel:DWORD dst_unused:UNUSED_PAD src0_sel:DWORD src1_sel:BYTE_1
	v_lshrrev_b16_e32 v82, 3, v12
	v_mul_lo_u16_e32 v12, 11, v82
	v_sub_u16_e32 v83, v64, v12
	v_mov_b32_e32 v12, 6
	v_mul_u32_u24_sdwa v12, v83, v12 dst_sel:DWORD dst_unused:UNUSED_PAD src0_sel:BYTE_0 src1_sel:DWORD
	v_lshlrev_b32_e32 v36, 4, v12
	s_load_dwordx2 s[2:3], s[2:3], 0x0
	s_waitcnt lgkmcnt(0)
	; wave barrier
	s_waitcnt lgkmcnt(0)
	global_load_dwordx4 v[12:15], v36, s[8:9]
	global_load_dwordx4 v[16:19], v36, s[8:9] offset:16
	global_load_dwordx4 v[20:23], v36, s[8:9] offset:32
	;; [unrolled: 1-line block ×5, first 2 shown]
	ds_read_b128 v[36:39], v65
	ds_read_b128 v[40:43], v65 offset:880
	ds_read_b128 v[44:47], v65 offset:1760
	;; [unrolled: 1-line block ×6, first 2 shown]
	s_mov_b32 s12, 0xe976ee23
	s_mov_b32 s13, 0xbfe11646
	;; [unrolled: 1-line block ×6, first 2 shown]
	s_waitcnt lgkmcnt(0)
	; wave barrier
	s_waitcnt lgkmcnt(0)
	v_cmp_gt_u32_e32 vcc, 22, v64
	s_waitcnt vmcnt(5)
	v_mul_f64 v[70:71], v[42:43], v[14:15]
	v_mul_f64 v[14:15], v[40:41], v[14:15]
	s_waitcnt vmcnt(4)
	v_mul_f64 v[72:73], v[46:47], v[18:19]
	v_mul_f64 v[18:19], v[44:45], v[18:19]
	;; [unrolled: 3-line block ×6, first 2 shown]
	v_fma_f64 v[40:41], v[40:41], v[12:13], -v[70:71]
	v_fmac_f64_e32 v[14:15], v[42:43], v[12:13]
	v_fma_f64 v[12:13], v[44:45], v[16:17], -v[72:73]
	v_fmac_f64_e32 v[18:19], v[46:47], v[16:17]
	;; [unrolled: 2-line block ×6, first 2 shown]
	v_add_f64 v[32:33], v[40:41], v[28:29]
	v_add_f64 v[42:43], v[14:15], v[34:35]
	v_add_f64 v[14:15], v[14:15], -v[34:35]
	v_add_f64 v[34:35], v[12:13], v[24:25]
	v_add_f64 v[28:29], v[40:41], -v[28:29]
	;; [unrolled: 2-line block ×3, first 2 shown]
	v_add_f64 v[18:19], v[18:19], -v[30:31]
	v_add_f64 v[24:25], v[16:17], v[20:21]
	v_add_f64 v[30:31], v[22:23], v[26:27]
	v_add_f64 v[16:17], v[20:21], -v[16:17]
	v_add_f64 v[20:21], v[26:27], -v[22:23]
	v_add_f64 v[22:23], v[34:35], v[32:33]
	v_add_f64 v[26:27], v[40:41], v[42:43]
	v_add_f64 v[44:45], v[34:35], -v[32:33]
	v_add_f64 v[32:33], v[32:33], -v[24:25]
	;; [unrolled: 1-line block ×3, first 2 shown]
	v_add_f64 v[50:51], v[20:21], v[18:19]
	v_add_f64 v[52:53], v[16:17], -v[12:13]
	v_add_f64 v[54:55], v[20:21], -v[18:19]
	v_add_f64 v[24:25], v[24:25], v[22:23]
	v_add_f64 v[56:57], v[14:15], -v[20:21]
	v_add_f64 v[18:19], v[18:19], -v[14:15]
	v_add_f64 v[26:27], v[30:31], v[26:27]
	v_add_f64 v[14:15], v[50:51], v[14:15]
	v_mul_f64 v[50:51], v[52:53], s[12:13]
	v_add_f64 v[20:21], v[36:37], v[24:25]
	v_mul_f64 v[52:53], v[54:55], s[12:13]
	s_mov_b32 s12, 0xaaaaaaaa
	v_add_f64 v[22:23], v[38:39], v[26:27]
	s_mov_b32 s13, 0xbff2aaaa
	v_mov_b64_e32 v[54:55], v[20:21]
	v_add_f64 v[46:47], v[40:41], -v[42:43]
	v_add_f64 v[42:43], v[42:43], -v[30:31]
	;; [unrolled: 1-line block ×3, first 2 shown]
	v_add_f64 v[48:49], v[16:17], v[12:13]
	v_fmac_f64_e32 v[54:55], s[12:13], v[24:25]
	v_mov_b64_e32 v[24:25], v[22:23]
	v_add_f64 v[16:17], v[28:29], -v[16:17]
	v_add_f64 v[12:13], v[12:13], -v[28:29]
	v_add_f64 v[28:29], v[48:49], v[28:29]
	v_mul_f64 v[30:31], v[32:33], s[10:11]
	v_mul_f64 v[32:33], v[42:43], s[10:11]
	;; [unrolled: 1-line block ×4, first 2 shown]
	v_fmac_f64_e32 v[24:25], s[12:13], v[26:27]
	s_mov_b32 s13, 0x3fe77f67
	s_mov_b32 s12, 0x5476071b
	;; [unrolled: 1-line block ×3, first 2 shown]
	v_fma_f64 v[26:27], s[4:5], v[34:35], v[30:31]
	v_fma_f64 v[34:35], v[44:45], s[12:13], -v[42:43]
	v_fma_f64 v[42:43], v[46:47], s[12:13], -v[48:49]
	s_mov_b32 s13, 0xbfe77f67
	s_mov_b32 s11, 0x3febfeb5
	v_fma_f64 v[30:31], v[44:45], s[12:13], -v[30:31]
	v_fma_f64 v[44:45], v[46:47], s[12:13], -v[32:33]
	v_fmac_f64_e32 v[32:33], s[4:5], v[40:41]
	s_mov_b32 s5, 0x3fd5d0dc
	s_mov_b32 s4, 0xb247c609
	v_mul_f64 v[36:37], v[12:13], s[10:11]
	v_mul_f64 v[38:39], v[18:19], s[10:11]
	v_fma_f64 v[40:41], s[4:5], v[16:17], v[50:51]
	v_fma_f64 v[18:19], v[18:19], s[10:11], -v[52:53]
	v_fmac_f64_e32 v[52:53], s[4:5], v[56:57]
	s_mov_b32 s5, 0xbfd5d0dc
	v_fma_f64 v[16:17], v[16:17], s[4:5], -v[36:37]
	v_fma_f64 v[46:47], v[56:57], s[4:5], -v[38:39]
	s_mov_b32 s4, 0x37c3f68c
	s_mov_b32 s5, 0x3fdc38aa
	v_fma_f64 v[12:13], v[12:13], s[10:11], -v[50:51]
	v_add_f64 v[50:51], v[32:33], v[24:25]
	v_add_f64 v[36:37], v[34:35], v[54:55]
	v_fmac_f64_e32 v[40:41], s[4:5], v[28:29]
	v_fmac_f64_e32 v[18:19], s[4:5], v[14:15]
	v_add_f64 v[48:49], v[26:27], v[54:55]
	v_add_f64 v[26:27], v[50:51], -v[40:41]
	v_add_f64 v[32:33], v[36:37], -v[18:19]
	v_add_f64 v[36:37], v[18:19], v[36:37]
	v_add_f64 v[18:19], v[40:41], v[50:51]
	v_mov_b32_e32 v41, 4
	v_add_f64 v[38:39], v[42:43], v[24:25]
	v_add_f64 v[42:43], v[30:31], v[54:55]
	;; [unrolled: 1-line block ×3, first 2 shown]
	v_fmac_f64_e32 v[52:53], s[4:5], v[14:15]
	v_fmac_f64_e32 v[12:13], s[4:5], v[28:29]
	;; [unrolled: 1-line block ×4, first 2 shown]
	v_mul_u32_u24_e32 v40, 0x4d0, v82
	v_lshlrev_b32_sdwa v41, v41, v83 dst_sel:DWORD dst_unused:UNUSED_PAD src0_sel:DWORD src1_sel:BYTE_0
	v_add_f64 v[24:25], v[52:53], v[48:49]
	v_add_f64 v[28:29], v[46:47], v[42:43]
	v_add_f64 v[30:31], v[44:45], -v[16:17]
	v_add_f64 v[34:35], v[12:13], v[38:39]
	v_add_f64 v[38:39], v[38:39], -v[12:13]
	v_add3_u32 v40, 0, v40, v41
	v_add_f64 v[12:13], v[42:43], -v[46:47]
	v_add_f64 v[14:15], v[16:17], v[44:45]
	v_add_f64 v[16:17], v[48:49], -v[52:53]
	ds_write_b128 v40, v[20:23]
	ds_write_b128 v40, v[24:27] offset:176
	ds_write_b128 v40, v[28:31] offset:352
	;; [unrolled: 1-line block ×6, first 2 shown]
	s_waitcnt lgkmcnt(0)
	; wave barrier
	s_waitcnt lgkmcnt(0)
	ds_read_b128 v[20:23], v65
	ds_read_b128 v[36:39], v65 offset:1232
	ds_read_b128 v[32:35], v65 offset:2464
	;; [unrolled: 1-line block ×4, first 2 shown]
	s_and_saveexec_b64 s[4:5], vcc
	s_cbranch_execz .LBB0_17
; %bb.16:
	ds_read_b128 v[12:15], v65 offset:880
	ds_read_b128 v[16:19], v65 offset:2112
	;; [unrolled: 1-line block ×5, first 2 shown]
.LBB0_17:
	s_or_b64 exec, exec, s[4:5]
	v_lshlrev_b32_e32 v40, 2, v64
	v_mov_b32_e32 v41, 0
	v_lshl_add_u64 v[58:59], v[40:41], 4, s[8:9]
	global_load_dwordx4 v[42:45], v[58:59], off offset:1056
	global_load_dwordx4 v[46:49], v[58:59], off offset:1072
	;; [unrolled: 1-line block ×4, first 2 shown]
	s_mov_b32 s12, 0x134454ff
	s_mov_b32 s13, 0x3fee6f0e
	;; [unrolled: 1-line block ×10, first 2 shown]
	s_waitcnt lgkmcnt(0)
	; wave barrier
	s_waitcnt vmcnt(3) lgkmcnt(0)
	v_mul_f64 v[58:59], v[38:39], v[44:45]
	v_mul_f64 v[44:45], v[36:37], v[44:45]
	s_waitcnt vmcnt(2)
	v_mul_f64 v[66:67], v[34:35], v[48:49]
	v_mul_f64 v[48:49], v[32:33], v[48:49]
	s_waitcnt vmcnt(1)
	;; [unrolled: 3-line block ×3, first 2 shown]
	v_mul_f64 v[70:71], v[26:27], v[56:57]
	v_mul_f64 v[56:57], v[24:25], v[56:57]
	v_fma_f64 v[36:37], v[36:37], v[42:43], -v[58:59]
	v_fmac_f64_e32 v[44:45], v[38:39], v[42:43]
	v_fma_f64 v[32:33], v[32:33], v[46:47], -v[66:67]
	v_fmac_f64_e32 v[48:49], v[34:35], v[46:47]
	;; [unrolled: 2-line block ×4, first 2 shown]
	v_add_f64 v[24:25], v[20:21], v[36:37]
	v_add_f64 v[26:27], v[32:33], v[28:29]
	v_add_f64 v[30:31], v[36:37], -v[32:33]
	v_add_f64 v[34:35], v[38:39], -v[28:29]
	v_add_f64 v[50:51], v[36:37], v[38:39]
	v_add_f64 v[66:67], v[22:23], v[44:45]
	;; [unrolled: 1-line block ×4, first 2 shown]
	v_add_f64 v[42:43], v[44:45], -v[56:57]
	v_add_f64 v[46:47], v[48:49], -v[52:53]
	v_add_f64 v[54:55], v[32:33], -v[36:37]
	v_add_f64 v[70:71], v[36:37], -v[38:39]
	v_add_f64 v[72:73], v[32:33], -v[28:29]
	v_add_f64 v[36:37], v[44:45], -v[48:49]
	v_add_f64 v[74:75], v[56:57], -v[52:53]
	v_add_f64 v[32:33], v[24:25], v[32:33]
	v_fma_f64 v[24:25], -0.5, v[26:27], v[20:21]
	v_add_f64 v[80:81], v[30:31], v[34:35]
	v_fmac_f64_e32 v[20:21], -0.5, v[50:51]
	v_add_f64 v[30:31], v[66:67], v[48:49]
	v_fma_f64 v[26:27], -0.5, v[68:69], v[22:23]
	v_fmac_f64_e32 v[22:23], -0.5, v[76:77]
	v_add_f64 v[58:59], v[28:29], -v[38:39]
	v_add_f64 v[44:45], v[48:49], -v[44:45]
	;; [unrolled: 1-line block ×3, first 2 shown]
	v_add_f64 v[48:49], v[36:37], v[74:75]
	v_add_f64 v[36:37], v[32:33], v[28:29]
	v_fma_f64 v[28:29], s[12:13], v[42:43], v[24:25]
	v_fmac_f64_e32 v[24:25], s[16:17], v[42:43]
	v_fma_f64 v[32:33], s[16:17], v[46:47], v[20:21]
	v_fmac_f64_e32 v[20:21], s[12:13], v[46:47]
	v_add_f64 v[52:53], v[30:31], v[52:53]
	v_fma_f64 v[30:31], s[16:17], v[70:71], v[26:27]
	v_fmac_f64_e32 v[26:27], s[12:13], v[70:71]
	v_fma_f64 v[34:35], s[12:13], v[72:73], v[22:23]
	v_fmac_f64_e32 v[22:23], s[16:17], v[72:73]
	v_add_f64 v[50:51], v[54:55], v[58:59]
	v_add_f64 v[44:45], v[44:45], v[78:79]
	;; [unrolled: 1-line block ×3, first 2 shown]
	v_fmac_f64_e32 v[28:29], s[4:5], v[46:47]
	v_fmac_f64_e32 v[24:25], s[14:15], v[46:47]
	;; [unrolled: 1-line block ×4, first 2 shown]
	v_add_f64 v[38:39], v[52:53], v[56:57]
	v_fmac_f64_e32 v[30:31], s[14:15], v[72:73]
	v_fmac_f64_e32 v[26:27], s[4:5], v[72:73]
	v_fmac_f64_e32 v[34:35], s[14:15], v[70:71]
	v_fmac_f64_e32 v[22:23], s[4:5], v[70:71]
	v_fmac_f64_e32 v[28:29], s[10:11], v[80:81]
	v_fmac_f64_e32 v[24:25], s[10:11], v[80:81]
	v_fmac_f64_e32 v[32:33], s[10:11], v[50:51]
	v_fmac_f64_e32 v[20:21], s[10:11], v[50:51]
	v_fmac_f64_e32 v[30:31], s[10:11], v[48:49]
	v_fmac_f64_e32 v[26:27], s[10:11], v[48:49]
	v_fmac_f64_e32 v[34:35], s[10:11], v[44:45]
	v_fmac_f64_e32 v[22:23], s[10:11], v[44:45]
	ds_write_b128 v65, v[36:39]
	ds_write_b128 v65, v[28:31] offset:1232
	ds_write_b128 v65, v[32:35] offset:2464
	;; [unrolled: 1-line block ×4, first 2 shown]
	s_and_saveexec_b64 s[18:19], vcc
	s_cbranch_execz .LBB0_19
; %bb.18:
	v_not_b32_e32 v20, 21
	v_cndmask_b32_e64 v20, v20, 55, vcc
	v_add_lshl_u32 v40, v64, v20, 2
	v_lshl_add_u64 v[36:37], v[40:41], 4, s[8:9]
	global_load_dwordx4 v[20:23], v[36:37], off offset:1072
	global_load_dwordx4 v[24:27], v[36:37], off offset:1056
	;; [unrolled: 1-line block ×4, first 2 shown]
	s_waitcnt vmcnt(3)
	v_mul_f64 v[36:37], v[8:9], v[22:23]
	s_waitcnt vmcnt(2)
	v_mul_f64 v[38:39], v[16:17], v[26:27]
	;; [unrolled: 2-line block ×4, first 2 shown]
	v_mul_f64 v[26:27], v[18:19], v[26:27]
	v_mul_f64 v[34:35], v[2:3], v[34:35]
	;; [unrolled: 1-line block ×4, first 2 shown]
	v_fmac_f64_e32 v[36:37], v[10:11], v[20:21]
	v_fmac_f64_e32 v[38:39], v[18:19], v[24:25]
	;; [unrolled: 1-line block ×4, first 2 shown]
	v_fma_f64 v[2:3], v[16:17], v[24:25], -v[26:27]
	v_fma_f64 v[16:17], v[0:1], v[32:33], -v[34:35]
	;; [unrolled: 1-line block ×4, first 2 shown]
	v_add_f64 v[0:1], v[36:37], -v[38:39]
	v_add_f64 v[4:5], v[40:41], -v[42:43]
	v_add_f64 v[6:7], v[38:39], v[42:43]
	v_add_f64 v[26:27], v[36:37], v[40:41]
	;; [unrolled: 1-line block ×3, first 2 shown]
	v_add_f64 v[30:31], v[8:9], -v[2:3]
	v_add_f64 v[32:33], v[18:19], -v[16:17]
	v_add_f64 v[44:45], v[2:3], v[16:17]
	v_add_f64 v[50:51], v[8:9], v[18:19]
	;; [unrolled: 1-line block ×3, first 2 shown]
	v_add_f64 v[20:21], v[2:3], -v[16:17]
	v_add_f64 v[22:23], v[8:9], -v[18:19]
	;; [unrolled: 1-line block ×7, first 2 shown]
	v_add_f64 v[54:55], v[0:1], v[4:5]
	v_fma_f64 v[2:3], -0.5, v[6:7], v[14:15]
	v_fma_f64 v[6:7], -0.5, v[26:27], v[14:15]
	v_add_f64 v[26:27], v[28:29], v[36:37]
	v_add_f64 v[28:29], v[30:31], v[32:33]
	v_fma_f64 v[0:1], -0.5, v[44:45], v[12:13]
	v_fma_f64 v[4:5], -0.5, v[50:51], v[12:13]
	v_add_f64 v[32:33], v[52:53], v[8:9]
	v_add_f64 v[48:49], v[16:17], -v[18:19]
	v_add_f64 v[24:25], v[10:11], v[24:25]
	v_fma_f64 v[10:11], s[16:17], v[22:23], v[2:3]
	v_fmac_f64_e32 v[2:3], s[12:13], v[22:23]
	v_fma_f64 v[14:15], s[12:13], v[20:21], v[6:7]
	v_fmac_f64_e32 v[6:7], s[16:17], v[20:21]
	v_add_f64 v[26:27], v[26:27], v[40:41]
	v_fma_f64 v[8:9], s[12:13], v[34:35], v[0:1]
	v_fmac_f64_e32 v[0:1], s[16:17], v[34:35]
	v_fma_f64 v[12:13], s[16:17], v[38:39], v[4:5]
	v_fmac_f64_e32 v[4:5], s[12:13], v[38:39]
	v_add_f64 v[32:33], v[32:33], v[18:19]
	v_add_f64 v[30:31], v[46:47], v[48:49]
	v_fmac_f64_e32 v[10:11], s[4:5], v[20:21]
	v_fmac_f64_e32 v[2:3], s[14:15], v[20:21]
	v_fmac_f64_e32 v[14:15], s[4:5], v[22:23]
	v_fmac_f64_e32 v[6:7], s[14:15], v[22:23]
	v_add_f64 v[18:19], v[26:27], v[42:43]
	v_fmac_f64_e32 v[8:9], s[14:15], v[38:39]
	v_fmac_f64_e32 v[0:1], s[4:5], v[38:39]
	v_fmac_f64_e32 v[12:13], s[14:15], v[34:35]
	v_fmac_f64_e32 v[4:5], s[4:5], v[34:35]
	;; [unrolled: 5-line block ×3, first 2 shown]
	v_fmac_f64_e32 v[8:9], s[10:11], v[28:29]
	v_fmac_f64_e32 v[0:1], s[10:11], v[28:29]
	;; [unrolled: 1-line block ×4, first 2 shown]
	ds_write_b128 v65, v[16:19] offset:880
	ds_write_b128 v65, v[4:7] offset:2112
	;; [unrolled: 1-line block ×5, first 2 shown]
.LBB0_19:
	s_or_b64 exec, exec, s[18:19]
	s_waitcnt lgkmcnt(0)
	; wave barrier
	s_waitcnt lgkmcnt(0)
	s_and_saveexec_b64 s[4:5], s[0:1]
	s_cbranch_execz .LBB0_21
; %bb.20:
	v_mul_lo_u32 v0, s3, v62
	v_mul_lo_u32 v1, s2, v63
	v_mad_u64_u32 v[4:5], s[0:1], s2, v62, 0
	v_lshl_add_u32 v12, v64, 4, 0
	v_add3_u32 v5, v5, v1, v0
	ds_read_b128 v[0:3], v12
	v_lshl_add_u64 v[4:5], v[4:5], 4, s[6:7]
	v_lshl_add_u64 v[8:9], v[60:61], 4, v[4:5]
	ds_read_b128 v[4:7], v12 offset:880
	v_mov_b32_e32 v65, 0
	v_lshl_add_u64 v[10:11], v[64:65], 4, v[8:9]
	s_waitcnt lgkmcnt(1)
	global_store_dwordx4 v[10:11], v[0:3], off
	s_nop 1
	v_add_u32_e32 v0, 55, v64
	v_mov_b32_e32 v1, v65
	v_lshl_add_u64 v[0:1], v[0:1], 4, v[8:9]
	s_waitcnt lgkmcnt(0)
	global_store_dwordx4 v[0:1], v[4:7], off
	ds_read_b128 v[0:3], v12 offset:1760
	s_nop 0
	v_add_u32_e32 v4, 0x6e, v64
	v_mov_b32_e32 v5, v65
	v_lshl_add_u64 v[10:11], v[4:5], 4, v[8:9]
	ds_read_b128 v[4:7], v12 offset:2640
	s_waitcnt lgkmcnt(1)
	global_store_dwordx4 v[10:11], v[0:3], off
	s_nop 1
	v_add_u32_e32 v0, 0xa5, v64
	v_mov_b32_e32 v1, v65
	v_lshl_add_u64 v[0:1], v[0:1], 4, v[8:9]
	s_waitcnt lgkmcnt(0)
	global_store_dwordx4 v[0:1], v[4:7], off
	ds_read_b128 v[0:3], v12 offset:3520
	s_nop 0
	v_add_u32_e32 v4, 0xdc, v64
	v_mov_b32_e32 v5, v65
	v_lshl_add_u64 v[10:11], v[4:5], 4, v[8:9]
	ds_read_b128 v[4:7], v12 offset:4400
	s_waitcnt lgkmcnt(1)
	global_store_dwordx4 v[10:11], v[0:3], off
	ds_read_b128 v[0:3], v12 offset:5280
	v_add_u32_e32 v10, 0x113, v64
	v_mov_b32_e32 v11, v65
	v_lshl_add_u64 v[10:11], v[10:11], 4, v[8:9]
	v_add_u32_e32 v64, 0x14a, v64
	s_waitcnt lgkmcnt(1)
	global_store_dwordx4 v[10:11], v[4:7], off
	s_nop 1
	v_lshl_add_u64 v[4:5], v[64:65], 4, v[8:9]
	s_waitcnt lgkmcnt(0)
	global_store_dwordx4 v[4:5], v[0:3], off
.LBB0_21:
	s_endpgm
	.section	.rodata,"a",@progbits
	.p2align	6, 0x0
	.amdhsa_kernel fft_rtc_fwd_len385_factors_11_7_5_wgs_55_tpt_55_dp_op_CI_CI_unitstride_sbrr_dirReg
		.amdhsa_group_segment_fixed_size 0
		.amdhsa_private_segment_fixed_size 0
		.amdhsa_kernarg_size 104
		.amdhsa_user_sgpr_count 2
		.amdhsa_user_sgpr_dispatch_ptr 0
		.amdhsa_user_sgpr_queue_ptr 0
		.amdhsa_user_sgpr_kernarg_segment_ptr 1
		.amdhsa_user_sgpr_dispatch_id 0
		.amdhsa_user_sgpr_kernarg_preload_length 0
		.amdhsa_user_sgpr_kernarg_preload_offset 0
		.amdhsa_user_sgpr_private_segment_size 0
		.amdhsa_uses_dynamic_stack 0
		.amdhsa_enable_private_segment 0
		.amdhsa_system_sgpr_workgroup_id_x 1
		.amdhsa_system_sgpr_workgroup_id_y 0
		.amdhsa_system_sgpr_workgroup_id_z 0
		.amdhsa_system_sgpr_workgroup_info 0
		.amdhsa_system_vgpr_workitem_id 0
		.amdhsa_next_free_vgpr 188
		.amdhsa_next_free_sgpr 42
		.amdhsa_accum_offset 188
		.amdhsa_reserve_vcc 1
		.amdhsa_float_round_mode_32 0
		.amdhsa_float_round_mode_16_64 0
		.amdhsa_float_denorm_mode_32 3
		.amdhsa_float_denorm_mode_16_64 3
		.amdhsa_dx10_clamp 1
		.amdhsa_ieee_mode 1
		.amdhsa_fp16_overflow 0
		.amdhsa_tg_split 0
		.amdhsa_exception_fp_ieee_invalid_op 0
		.amdhsa_exception_fp_denorm_src 0
		.amdhsa_exception_fp_ieee_div_zero 0
		.amdhsa_exception_fp_ieee_overflow 0
		.amdhsa_exception_fp_ieee_underflow 0
		.amdhsa_exception_fp_ieee_inexact 0
		.amdhsa_exception_int_div_zero 0
	.end_amdhsa_kernel
	.text
.Lfunc_end0:
	.size	fft_rtc_fwd_len385_factors_11_7_5_wgs_55_tpt_55_dp_op_CI_CI_unitstride_sbrr_dirReg, .Lfunc_end0-fft_rtc_fwd_len385_factors_11_7_5_wgs_55_tpt_55_dp_op_CI_CI_unitstride_sbrr_dirReg
                                        ; -- End function
	.section	.AMDGPU.csdata,"",@progbits
; Kernel info:
; codeLenInByte = 7428
; NumSgprs: 48
; NumVgprs: 188
; NumAgprs: 0
; TotalNumVgprs: 188
; ScratchSize: 0
; MemoryBound: 0
; FloatMode: 240
; IeeeMode: 1
; LDSByteSize: 0 bytes/workgroup (compile time only)
; SGPRBlocks: 5
; VGPRBlocks: 23
; NumSGPRsForWavesPerEU: 48
; NumVGPRsForWavesPerEU: 188
; AccumOffset: 188
; Occupancy: 2
; WaveLimiterHint : 1
; COMPUTE_PGM_RSRC2:SCRATCH_EN: 0
; COMPUTE_PGM_RSRC2:USER_SGPR: 2
; COMPUTE_PGM_RSRC2:TRAP_HANDLER: 0
; COMPUTE_PGM_RSRC2:TGID_X_EN: 1
; COMPUTE_PGM_RSRC2:TGID_Y_EN: 0
; COMPUTE_PGM_RSRC2:TGID_Z_EN: 0
; COMPUTE_PGM_RSRC2:TIDIG_COMP_CNT: 0
; COMPUTE_PGM_RSRC3_GFX90A:ACCUM_OFFSET: 46
; COMPUTE_PGM_RSRC3_GFX90A:TG_SPLIT: 0
	.text
	.p2alignl 6, 3212836864
	.fill 256, 4, 3212836864
	.type	__hip_cuid_bf9c9e4456b2ade9,@object ; @__hip_cuid_bf9c9e4456b2ade9
	.section	.bss,"aw",@nobits
	.globl	__hip_cuid_bf9c9e4456b2ade9
__hip_cuid_bf9c9e4456b2ade9:
	.byte	0                               ; 0x0
	.size	__hip_cuid_bf9c9e4456b2ade9, 1

	.ident	"AMD clang version 19.0.0git (https://github.com/RadeonOpenCompute/llvm-project roc-6.4.0 25133 c7fe45cf4b819c5991fe208aaa96edf142730f1d)"
	.section	".note.GNU-stack","",@progbits
	.addrsig
	.addrsig_sym __hip_cuid_bf9c9e4456b2ade9
	.amdgpu_metadata
---
amdhsa.kernels:
  - .agpr_count:     0
    .args:
      - .actual_access:  read_only
        .address_space:  global
        .offset:         0
        .size:           8
        .value_kind:     global_buffer
      - .offset:         8
        .size:           8
        .value_kind:     by_value
      - .actual_access:  read_only
        .address_space:  global
        .offset:         16
        .size:           8
        .value_kind:     global_buffer
      - .actual_access:  read_only
        .address_space:  global
        .offset:         24
        .size:           8
        .value_kind:     global_buffer
      - .actual_access:  read_only
        .address_space:  global
        .offset:         32
        .size:           8
        .value_kind:     global_buffer
      - .offset:         40
        .size:           8
        .value_kind:     by_value
      - .actual_access:  read_only
        .address_space:  global
        .offset:         48
        .size:           8
        .value_kind:     global_buffer
      - .actual_access:  read_only
        .address_space:  global
        .offset:         56
        .size:           8
        .value_kind:     global_buffer
      - .offset:         64
        .size:           4
        .value_kind:     by_value
      - .actual_access:  read_only
        .address_space:  global
        .offset:         72
        .size:           8
        .value_kind:     global_buffer
      - .actual_access:  read_only
        .address_space:  global
        .offset:         80
        .size:           8
        .value_kind:     global_buffer
      - .actual_access:  read_only
        .address_space:  global
        .offset:         88
        .size:           8
        .value_kind:     global_buffer
      - .actual_access:  write_only
        .address_space:  global
        .offset:         96
        .size:           8
        .value_kind:     global_buffer
    .group_segment_fixed_size: 0
    .kernarg_segment_align: 8
    .kernarg_segment_size: 104
    .language:       OpenCL C
    .language_version:
      - 2
      - 0
    .max_flat_workgroup_size: 55
    .name:           fft_rtc_fwd_len385_factors_11_7_5_wgs_55_tpt_55_dp_op_CI_CI_unitstride_sbrr_dirReg
    .private_segment_fixed_size: 0
    .sgpr_count:     48
    .sgpr_spill_count: 0
    .symbol:         fft_rtc_fwd_len385_factors_11_7_5_wgs_55_tpt_55_dp_op_CI_CI_unitstride_sbrr_dirReg.kd
    .uniform_work_group_size: 1
    .uses_dynamic_stack: false
    .vgpr_count:     188
    .vgpr_spill_count: 0
    .wavefront_size: 64
amdhsa.target:   amdgcn-amd-amdhsa--gfx950
amdhsa.version:
  - 1
  - 2
...

	.end_amdgpu_metadata
